;; amdgpu-corpus repo=ROCm/rocFFT kind=compiled arch=gfx950 opt=O3
	.text
	.amdgcn_target "amdgcn-amd-amdhsa--gfx950"
	.amdhsa_code_object_version 6
	.protected	fft_rtc_fwd_len280_factors_8_5_7_wgs_392_tpt_56_dp_op_CI_CI_sbcc_twdbase6_3step_dirReg ; -- Begin function fft_rtc_fwd_len280_factors_8_5_7_wgs_392_tpt_56_dp_op_CI_CI_sbcc_twdbase6_3step_dirReg
	.globl	fft_rtc_fwd_len280_factors_8_5_7_wgs_392_tpt_56_dp_op_CI_CI_sbcc_twdbase6_3step_dirReg
	.p2align	8
	.type	fft_rtc_fwd_len280_factors_8_5_7_wgs_392_tpt_56_dp_op_CI_CI_sbcc_twdbase6_3step_dirReg,@function
fft_rtc_fwd_len280_factors_8_5_7_wgs_392_tpt_56_dp_op_CI_CI_sbcc_twdbase6_3step_dirReg: ; @fft_rtc_fwd_len280_factors_8_5_7_wgs_392_tpt_56_dp_op_CI_CI_sbcc_twdbase6_3step_dirReg
; %bb.0:
	s_load_dwordx8 s[4:11], s[0:1], 0x8
	s_load_dwordx2 s[30:31], s[0:1], 0x28
	s_movk_i32 s3, 0xc0
	v_cmp_gt_u32_e32 vcc, s3, v0
	s_and_saveexec_b64 s[12:13], vcc
	s_cbranch_execz .LBB0_2
; %bb.1:
	v_lshlrev_b32_e32 v1, 4, v0
	s_waitcnt lgkmcnt(0)
	global_load_dwordx4 v[2:5], v1, s[4:5]
	v_add_u32_e32 v1, 0, v1
	v_add_u32_e32 v1, 0x7a80, v1
	s_waitcnt vmcnt(0)
	ds_write2_b64 v1, v[2:3], v[4:5] offset1:1
.LBB0_2:
	s_or_b64 exec, exec, s[12:13]
	s_waitcnt lgkmcnt(0)
	s_load_dwordx2 s[28:29], s[8:9], 0x8
	s_mov_b32 s3, 0
	s_mov_b64 s[26:27], 0
	s_waitcnt lgkmcnt(0)
	s_add_u32 s4, s28, -1
	s_addc_u32 s5, s29, -1
	s_add_u32 s12, 0, 0x92481000
	s_addc_u32 s13, 0, 0x64
	s_mul_hi_u32 s15, s12, -7
	s_add_i32 s13, s13, 0x249248c0
	s_sub_i32 s15, s15, s12
	s_mul_i32 s18, s13, -7
	s_mul_i32 s14, s12, -7
	s_add_i32 s15, s15, s18
	s_mul_hi_u32 s16, s13, s14
	s_mul_i32 s17, s13, s14
	s_mul_i32 s19, s12, s15
	s_mul_hi_u32 s14, s12, s14
	s_mul_hi_u32 s18, s12, s15
	s_add_u32 s14, s14, s19
	s_addc_u32 s18, 0, s18
	s_add_u32 s14, s14, s17
	s_mul_hi_u32 s19, s13, s15
	s_addc_u32 s14, s18, s16
	s_addc_u32 s16, s19, 0
	s_mul_i32 s15, s13, s15
	s_add_u32 s14, s14, s15
	v_mov_b32_e32 v1, s14
	s_addc_u32 s15, 0, s16
	v_add_co_u32_e32 v1, vcc, s12, v1
	s_cmp_lg_u64 vcc, 0
	s_addc_u32 s12, s13, s15
	v_readfirstlane_b32 s15, v1
	s_mul_i32 s14, s4, s12
	s_mul_hi_u32 s16, s4, s15
	s_mul_hi_u32 s13, s4, s12
	s_add_u32 s14, s16, s14
	s_addc_u32 s13, 0, s13
	s_mul_hi_u32 s17, s5, s15
	s_mul_i32 s15, s5, s15
	s_add_u32 s14, s14, s15
	s_mul_hi_u32 s16, s5, s12
	s_addc_u32 s13, s13, s17
	s_addc_u32 s14, s16, 0
	s_mul_i32 s12, s5, s12
	s_add_u32 s12, s13, s12
	s_addc_u32 s13, 0, s14
	s_add_u32 s14, s12, 1
	s_addc_u32 s15, s13, 0
	s_add_u32 s16, s12, 2
	s_mul_i32 s18, s13, 7
	s_mul_hi_u32 s19, s12, 7
	s_addc_u32 s17, s13, 0
	s_add_i32 s19, s19, s18
	s_mul_i32 s18, s12, 7
	v_mov_b32_e32 v1, s18
	v_sub_co_u32_e32 v1, vcc, s4, v1
	s_cmp_lg_u64 vcc, 0
	s_subb_u32 s4, s5, s19
	v_subrev_co_u32_e32 v2, vcc, 7, v1
	s_cmp_lg_u64 vcc, 0
	s_subb_u32 s5, s4, 0
	v_readfirstlane_b32 s18, v2
	s_cmp_gt_u32 s18, 6
	s_cselect_b32 s18, -1, 0
	s_cmp_eq_u32 s5, 0
	s_cselect_b32 s5, s18, -1
	s_cmp_lg_u32 s5, 0
	s_cselect_b32 s5, s16, s14
	s_cselect_b32 s14, s17, s15
	v_readfirstlane_b32 s15, v1
	s_cmp_gt_u32 s15, 6
	s_cselect_b32 s15, -1, 0
	s_cmp_eq_u32 s4, 0
	s_cselect_b32 s4, s15, -1
	s_cmp_lg_u32 s4, 0
	s_cselect_b32 s5, s5, s12
	s_cselect_b32 s4, s14, s13
	s_add_u32 s34, s5, 1
	s_addc_u32 s35, s4, 0
	v_mov_b64_e32 v[2:3], s[34:35]
	v_cmp_lt_u64_e32 vcc, s[2:3], v[2:3]
	s_cbranch_vccnz .LBB0_4
; %bb.3:
	v_cvt_f32_u32_e32 v1, s34
	s_sub_i32 s4, 0, s34
	s_mov_b32 s27, s3
	v_rcp_iflag_f32_e32 v1, v1
	s_nop 0
	v_mul_f32_e32 v1, 0x4f7ffffe, v1
	v_cvt_u32_f32_e32 v1, v1
	s_nop 0
	v_readfirstlane_b32 s5, v1
	s_mul_i32 s4, s4, s5
	s_mul_hi_u32 s4, s5, s4
	s_add_i32 s5, s5, s4
	s_mul_hi_u32 s4, s2, s5
	s_mul_i32 s12, s4, s34
	s_sub_i32 s12, s2, s12
	s_add_i32 s5, s4, 1
	s_sub_i32 s13, s12, s34
	s_cmp_ge_u32 s12, s34
	s_cselect_b32 s4, s5, s4
	s_cselect_b32 s12, s13, s12
	s_add_i32 s5, s4, 1
	s_cmp_ge_u32 s12, s34
	s_cselect_b32 s26, s5, s4
.LBB0_4:
	s_load_dwordx4 s[16:19], s[0:1], 0x60
	s_load_dwordx2 s[24:25], s[0:1], 0x0
	s_load_dwordx4 s[20:23], s[10:11], 0x0
	s_load_dwordx4 s[12:15], s[30:31], 0x0
	s_mul_i32 s0, s26, s35
	s_mul_hi_u32 s1, s26, s34
	s_add_i32 s1, s1, s0
	s_mul_i32 s0, s26, s34
	s_sub_u32 s0, s2, s0
	s_subb_u32 s1, 0, s1
	s_mul_i32 s1, s1, 7
	s_mul_hi_u32 s4, s0, 7
	s_add_i32 s5, s4, s1
	s_mul_i32 s4, s0, 7
	s_waitcnt lgkmcnt(0)
	s_mul_i32 s0, s22, s5
	s_mul_hi_u32 s1, s22, s4
	s_add_i32 s0, s1, s0
	s_mul_i32 s1, s23, s4
	s_add_i32 s49, s0, s1
	s_mul_i32 s0, s14, s5
	s_mul_hi_u32 s1, s14, s4
	s_add_i32 s0, s1, s0
	s_mul_i32 s1, s15, s4
	s_add_i32 s33, s0, s1
	v_cmp_lt_u64_e64 s[0:1], s[6:7], 3
	s_mul_i32 s50, s22, s4
	s_mul_i32 s48, s14, s4
	s_and_b64 vcc, exec, s[0:1]
	s_cbranch_vccnz .LBB0_14
; %bb.5:
	s_add_u32 s36, s30, 16
	s_addc_u32 s37, s31, 0
	s_add_u32 s38, s10, 16
	s_addc_u32 s39, s11, 0
	;; [unrolled: 2-line block ×3, first 2 shown]
	s_mov_b64 s[40:41], 2
	s_mov_b32 s42, 0
	v_mov_b64_e32 v[2:3], s[6:7]
.LBB0_6:                                ; =>This Inner Loop Header: Depth=1
	s_load_dwordx2 s[44:45], s[8:9], 0x0
	s_waitcnt lgkmcnt(0)
	s_or_b64 s[0:1], s[26:27], s[44:45]
	s_mov_b32 s43, s1
	s_cmp_lg_u64 s[42:43], 0
	s_cbranch_scc0 .LBB0_11
; %bb.7:                                ;   in Loop: Header=BB0_6 Depth=1
	v_cvt_f32_u32_e32 v1, s44
	v_cvt_f32_u32_e32 v4, s45
	s_sub_u32 s0, 0, s44
	s_subb_u32 s1, 0, s45
	v_fmac_f32_e32 v1, 0x4f800000, v4
	v_rcp_f32_e32 v1, v1
	s_nop 0
	v_mul_f32_e32 v1, 0x5f7ffffc, v1
	v_mul_f32_e32 v4, 0x2f800000, v1
	v_trunc_f32_e32 v4, v4
	v_fmac_f32_e32 v1, 0xcf800000, v4
	v_cvt_u32_f32_e32 v4, v4
	v_cvt_u32_f32_e32 v1, v1
	v_readfirstlane_b32 s43, v4
	v_readfirstlane_b32 s46, v1
	s_mul_i32 s47, s0, s43
	s_mul_hi_u32 s52, s0, s46
	s_mul_i32 s51, s1, s46
	s_add_i32 s47, s52, s47
	s_mul_i32 s53, s0, s46
	s_add_i32 s47, s47, s51
	s_mul_hi_u32 s51, s46, s47
	s_mul_i32 s52, s46, s47
	s_mul_hi_u32 s46, s46, s53
	s_add_u32 s46, s46, s52
	s_addc_u32 s51, 0, s51
	s_mul_hi_u32 s54, s43, s53
	s_mul_i32 s53, s43, s53
	s_add_u32 s46, s46, s53
	s_mul_hi_u32 s52, s43, s47
	s_addc_u32 s46, s51, s54
	s_addc_u32 s51, s52, 0
	s_mul_i32 s47, s43, s47
	s_add_u32 s46, s46, s47
	s_addc_u32 s47, 0, s51
	v_add_co_u32_e32 v1, vcc, s46, v1
	s_cmp_lg_u64 vcc, 0
	s_addc_u32 s43, s43, s47
	v_readfirstlane_b32 s47, v1
	s_mul_i32 s46, s0, s43
	s_mul_hi_u32 s51, s0, s47
	s_add_i32 s46, s51, s46
	s_mul_i32 s1, s1, s47
	s_add_i32 s46, s46, s1
	s_mul_i32 s0, s0, s47
	s_mul_hi_u32 s51, s43, s0
	s_mul_i32 s52, s43, s0
	s_mul_i32 s54, s47, s46
	s_mul_hi_u32 s0, s47, s0
	s_mul_hi_u32 s53, s47, s46
	s_add_u32 s0, s0, s54
	s_addc_u32 s47, 0, s53
	s_add_u32 s0, s0, s52
	s_mul_hi_u32 s1, s43, s46
	s_addc_u32 s0, s47, s51
	s_addc_u32 s1, s1, 0
	s_mul_i32 s46, s43, s46
	s_add_u32 s0, s0, s46
	s_addc_u32 s1, 0, s1
	v_add_co_u32_e32 v1, vcc, s0, v1
	s_cmp_lg_u64 vcc, 0
	s_addc_u32 s0, s43, s1
	v_readfirstlane_b32 s46, v1
	s_mul_i32 s43, s26, s0
	s_mul_hi_u32 s47, s26, s46
	s_mul_hi_u32 s1, s26, s0
	s_add_u32 s43, s47, s43
	s_addc_u32 s1, 0, s1
	s_mul_hi_u32 s51, s27, s46
	s_mul_i32 s46, s27, s46
	s_add_u32 s43, s43, s46
	s_mul_hi_u32 s47, s27, s0
	s_addc_u32 s1, s1, s51
	s_addc_u32 s43, s47, 0
	s_mul_i32 s0, s27, s0
	s_add_u32 s46, s1, s0
	s_addc_u32 s43, 0, s43
	s_mul_i32 s0, s44, s43
	s_mul_hi_u32 s1, s44, s46
	s_add_i32 s0, s1, s0
	s_mul_i32 s1, s45, s46
	s_add_i32 s47, s0, s1
	s_mul_i32 s1, s44, s46
	v_mov_b32_e32 v1, s1
	s_sub_i32 s0, s27, s47
	v_sub_co_u32_e32 v1, vcc, s26, v1
	s_cmp_lg_u64 vcc, 0
	s_subb_u32 s51, s0, s45
	v_subrev_co_u32_e64 v4, s[0:1], s44, v1
	s_cmp_lg_u64 s[0:1], 0
	s_subb_u32 s0, s51, 0
	s_cmp_ge_u32 s0, s45
	v_readfirstlane_b32 s51, v4
	s_cselect_b32 s1, -1, 0
	s_cmp_ge_u32 s51, s44
	s_cselect_b32 s51, -1, 0
	s_cmp_eq_u32 s0, s45
	s_cselect_b32 s0, s51, s1
	s_add_u32 s1, s46, 1
	s_addc_u32 s51, s43, 0
	s_add_u32 s52, s46, 2
	s_addc_u32 s53, s43, 0
	s_cmp_lg_u32 s0, 0
	s_cselect_b32 s0, s52, s1
	s_cselect_b32 s1, s53, s51
	s_cmp_lg_u64 vcc, 0
	s_subb_u32 s47, s27, s47
	s_cmp_ge_u32 s47, s45
	v_readfirstlane_b32 s52, v1
	s_cselect_b32 s51, -1, 0
	s_cmp_ge_u32 s52, s44
	s_cselect_b32 s52, -1, 0
	s_cmp_eq_u32 s47, s45
	s_cselect_b32 s47, s52, s51
	s_cmp_lg_u32 s47, 0
	s_cselect_b32 s1, s1, s43
	s_cselect_b32 s0, s0, s46
	s_cbranch_execnz .LBB0_9
.LBB0_8:                                ;   in Loop: Header=BB0_6 Depth=1
	v_cvt_f32_u32_e32 v1, s44
	s_sub_i32 s0, 0, s44
	v_rcp_iflag_f32_e32 v1, v1
	s_nop 0
	v_mul_f32_e32 v1, 0x4f7ffffe, v1
	v_cvt_u32_f32_e32 v1, v1
	s_nop 0
	v_readfirstlane_b32 s1, v1
	s_mul_i32 s0, s0, s1
	s_mul_hi_u32 s0, s1, s0
	s_add_i32 s1, s1, s0
	s_mul_hi_u32 s0, s26, s1
	s_mul_i32 s43, s0, s44
	s_sub_i32 s43, s26, s43
	s_add_i32 s1, s0, 1
	s_sub_i32 s46, s43, s44
	s_cmp_ge_u32 s43, s44
	s_cselect_b32 s0, s1, s0
	s_cselect_b32 s43, s46, s43
	s_add_i32 s1, s0, 1
	s_cmp_ge_u32 s43, s44
	s_cselect_b32 s0, s1, s0
	s_mov_b32 s1, s42
.LBB0_9:                                ;   in Loop: Header=BB0_6 Depth=1
	s_mul_i32 s35, s44, s35
	s_mul_hi_u32 s43, s44, s34
	s_add_i32 s35, s43, s35
	s_mul_i32 s43, s45, s34
	s_add_i32 s35, s35, s43
	s_mul_i32 s43, s0, s45
	s_mul_hi_u32 s45, s0, s44
	s_load_dwordx2 s[46:47], s[38:39], 0x0
	s_add_i32 s43, s45, s43
	s_mul_i32 s45, s1, s44
	s_mul_i32 s34, s44, s34
	s_add_i32 s43, s43, s45
	s_mul_i32 s44, s0, s44
	s_sub_u32 s44, s26, s44
	s_subb_u32 s43, s27, s43
	s_waitcnt lgkmcnt(0)
	s_mul_i32 s26, s46, s43
	s_mul_hi_u32 s27, s46, s44
	s_add_i32 s45, s27, s26
	s_load_dwordx2 s[26:27], s[36:37], 0x0
	s_mul_i32 s47, s47, s44
	s_add_i32 s45, s45, s47
	s_mul_i32 s46, s46, s44
	s_add_u32 s50, s46, s50
	s_addc_u32 s49, s45, s49
	s_waitcnt lgkmcnt(0)
	s_mul_i32 s43, s26, s43
	s_mul_hi_u32 s45, s26, s44
	s_add_i32 s43, s45, s43
	s_mul_i32 s27, s27, s44
	s_add_i32 s43, s43, s27
	s_mul_i32 s26, s26, s44
	s_add_u32 s48, s26, s48
	s_addc_u32 s33, s43, s33
	s_add_u32 s40, s40, 1
	s_addc_u32 s41, s41, 0
	;; [unrolled: 2-line block ×4, first 2 shown]
	s_add_u32 s8, s8, 8
	v_cmp_ge_u64_e32 vcc, s[40:41], v[2:3]
	s_addc_u32 s9, s9, 0
	s_cbranch_vccnz .LBB0_12
; %bb.10:                               ;   in Loop: Header=BB0_6 Depth=1
	s_mov_b64 s[26:27], s[0:1]
	s_branch .LBB0_6
.LBB0_11:                               ;   in Loop: Header=BB0_6 Depth=1
                                        ; implicit-def: $sgpr0_sgpr1
	s_branch .LBB0_8
.LBB0_12:
	v_mov_b64_e32 v[2:3], s[34:35]
	v_cmp_lt_u64_e32 vcc, s[2:3], v[2:3]
	s_mov_b64 s[26:27], 0
	s_cbranch_vccnz .LBB0_14
; %bb.13:
	v_cvt_f32_u32_e32 v1, s34
	s_sub_i32 s0, 0, s34
	v_rcp_iflag_f32_e32 v1, v1
	s_nop 0
	v_mul_f32_e32 v1, 0x4f7ffffe, v1
	v_cvt_u32_f32_e32 v1, v1
	s_nop 0
	v_readfirstlane_b32 s1, v1
	s_mul_i32 s0, s0, s1
	s_mul_hi_u32 s0, s1, s0
	s_add_i32 s1, s1, s0
	s_mul_hi_u32 s0, s2, s1
	s_mul_i32 s3, s0, s34
	s_sub_i32 s2, s2, s3
	s_add_i32 s1, s0, 1
	s_sub_i32 s3, s2, s34
	s_cmp_ge_u32 s2, s34
	s_cselect_b32 s0, s1, s0
	s_cselect_b32 s2, s3, s2
	s_add_i32 s1, s0, 1
	s_cmp_ge_u32 s2, s34
	s_cselect_b32 s26, s1, s0
.LBB0_14:
	s_lshl_b64 s[0:1], s[6:7], 3
	s_add_u32 s2, s10, s0
	s_addc_u32 s3, s11, s1
	s_load_dwordx2 s[2:3], s[2:3], 0x0
	s_mov_b32 s6, 0x24924925
	v_mul_hi_u32 v42, v0, s6
	v_mov_b64_e32 v[2:3], s[28:29]
	v_mul_u32_u24_e32 v1, 7, v42
	s_waitcnt lgkmcnt(0)
	s_mul_i32 s3, s3, s26
	s_mul_hi_u32 s6, s2, s26
	s_mul_i32 s2, s2, s26
	s_add_i32 s6, s6, s3
	s_add_u32 s8, s2, s50
	s_addc_u32 s9, s6, s49
	s_add_u32 s6, s30, s0
	s_addc_u32 s7, s31, s1
	;; [unrolled: 2-line block ×3, first 2 shown]
	v_cmp_le_u64_e32 vcc, s[0:1], v[2:3]
	s_movk_i32 s0, 0xf5
	v_cmp_gt_u32_e64 s[2:3], s0, v0
	v_sub_u32_e32 v34, v0, v1
	v_mov_b32_e32 v35, 0
	s_and_b64 s[10:11], s[2:3], vcc
	v_add_u32_e32 v1, 35, v42
                                        ; implicit-def: $vgpr4_vgpr5
                                        ; implicit-def: $vgpr12_vgpr13
                                        ; implicit-def: $vgpr20_vgpr21
                                        ; implicit-def: $vgpr32_vgpr33
                                        ; implicit-def: $vgpr28_vgpr29
                                        ; implicit-def: $vgpr24_vgpr25
                                        ; implicit-def: $vgpr16_vgpr17
                                        ; implicit-def: $vgpr8_vgpr9
	s_and_saveexec_b64 s[0:1], s[10:11]
	s_cbranch_execz .LBB0_16
; %bb.15:
	v_mad_u64_u32 v[2:3], s[10:11], s22, v34, 0
	v_mov_b32_e32 v4, v3
	v_mad_u64_u32 v[4:5], s[10:11], s23, v34, v[4:5]
	v_mov_b32_e32 v3, v4
	;; [unrolled: 2-line block ×3, first 2 shown]
	v_mad_u64_u32 v[6:7], s[10:11], s21, v42, v[6:7]
	s_lshl_b64 s[10:11], s[8:9], 4
	s_add_u32 s10, s16, s10
	s_addc_u32 s11, s17, s11
	v_mov_b32_e32 v5, v6
	v_lshl_add_u64 v[26:27], v[2:3], 4, s[10:11]
	v_mad_u64_u32 v[2:3], s[10:11], s20, v1, 0
	v_lshl_add_u64 v[10:11], v[4:5], 4, v[26:27]
	v_mov_b32_e32 v4, v3
	v_mad_u64_u32 v[4:5], s[10:11], s21, v1, v[4:5]
	v_mov_b32_e32 v3, v4
	v_lshl_add_u64 v[12:13], v[2:3], 4, v[26:27]
	global_load_dwordx4 v[6:9], v[10:11], off
	global_load_dwordx4 v[2:5], v[12:13], off
	v_add_u32_e32 v13, 0x46, v42
	v_mad_u64_u32 v[10:11], s[10:11], s20, v13, 0
	v_mov_b32_e32 v12, v11
	v_mad_u64_u32 v[12:13], s[10:11], s21, v13, v[12:13]
	v_mov_b32_e32 v11, v12
	v_add_u32_e32 v13, 0x69, v42
	v_lshl_add_u64 v[18:19], v[10:11], 4, v[26:27]
	v_mad_u64_u32 v[10:11], s[10:11], s20, v13, 0
	v_mov_b32_e32 v12, v11
	v_mad_u64_u32 v[12:13], s[10:11], s21, v13, v[12:13]
	v_mov_b32_e32 v11, v12
	v_lshl_add_u64 v[20:21], v[10:11], 4, v[26:27]
	global_load_dwordx4 v[14:17], v[18:19], off
	global_load_dwordx4 v[10:13], v[20:21], off
	v_add_u32_e32 v21, 0x8c, v42
	v_mad_u64_u32 v[18:19], s[10:11], s20, v21, 0
	v_mov_b32_e32 v20, v19
	v_mad_u64_u32 v[20:21], s[10:11], s21, v21, v[20:21]
	v_mov_b32_e32 v19, v20
	v_add_u32_e32 v21, 0xaf, v42
	v_lshl_add_u64 v[28:29], v[18:19], 4, v[26:27]
	v_mad_u64_u32 v[18:19], s[10:11], s20, v21, 0
	;; [unrolled: 14-line block ×3, first 2 shown]
	v_mov_b32_e32 v30, v29
	v_mad_u64_u32 v[30:31], s[10:11], s21, v31, v[30:31]
	v_mov_b32_e32 v29, v30
	v_lshl_add_u64 v[38:39], v[28:29], 4, v[26:27]
	global_load_dwordx4 v[30:33], v[36:37], off
	global_load_dwordx4 v[26:29], v[38:39], off
.LBB0_16:
	s_or_b64 exec, exec, s[0:1]
	v_lshl_add_u64 v[36:37], s[4:5], 0, v[34:35]
	v_cmp_gt_u64_e64 s[0:1], s[28:29], v[36:37]
	s_xor_b64 s[4:5], vcc, -1
	s_and_b64 s[10:11], s[2:3], s[0:1]
	s_and_b64 s[28:29], s[4:5], s[10:11]
	s_and_saveexec_b64 s[10:11], s[28:29]
	s_cbranch_execz .LBB0_18
; %bb.17:
	s_waitcnt vmcnt(6)
	v_mad_u64_u32 v[2:3], s[28:29], s22, v34, 0
	v_mov_b32_e32 v4, v3
	v_mad_u64_u32 v[4:5], s[22:23], s23, v34, v[4:5]
	v_mov_b32_e32 v3, v4
	v_mad_u64_u32 v[4:5], s[22:23], s20, v42, 0
	s_lshl_b64 s[8:9], s[8:9], 4
	v_mov_b32_e32 v6, v5
	s_add_u32 s8, s16, s8
	v_mad_u64_u32 v[6:7], s[22:23], s21, v42, v[6:7]
	s_addc_u32 s9, s17, s9
	v_mov_b32_e32 v5, v6
	s_waitcnt vmcnt(0)
	v_lshl_add_u64 v[26:27], v[2:3], 4, s[8:9]
	v_mad_u64_u32 v[2:3], s[8:9], s20, v1, 0
	v_lshl_add_u64 v[10:11], v[4:5], 4, v[26:27]
	v_mov_b32_e32 v4, v3
	v_mad_u64_u32 v[4:5], s[8:9], s21, v1, v[4:5]
	v_mov_b32_e32 v3, v4
	v_add_u32_e32 v1, 0x46, v42
	v_lshl_add_u64 v[12:13], v[2:3], 4, v[26:27]
	global_load_dwordx4 v[6:9], v[10:11], off
	global_load_dwordx4 v[2:5], v[12:13], off
	v_mad_u64_u32 v[10:11], s[8:9], s20, v1, 0
	v_mov_b32_e32 v12, v11
	v_mad_u64_u32 v[12:13], s[8:9], s21, v1, v[12:13]
	v_mov_b32_e32 v11, v12
	v_add_u32_e32 v1, 0x69, v42
	v_lshl_add_u64 v[18:19], v[10:11], 4, v[26:27]
	v_mad_u64_u32 v[10:11], s[8:9], s20, v1, 0
	v_mov_b32_e32 v12, v11
	v_mad_u64_u32 v[12:13], s[8:9], s21, v1, v[12:13]
	v_mov_b32_e32 v11, v12
	v_add_u32_e32 v1, 0x8c, v42
	v_lshl_add_u64 v[20:21], v[10:11], 4, v[26:27]
	global_load_dwordx4 v[14:17], v[18:19], off
	global_load_dwordx4 v[10:13], v[20:21], off
	v_mad_u64_u32 v[18:19], s[8:9], s20, v1, 0
	v_mov_b32_e32 v20, v19
	v_mad_u64_u32 v[20:21], s[8:9], s21, v1, v[20:21]
	v_mov_b32_e32 v19, v20
	v_add_u32_e32 v1, 0xaf, v42
	v_lshl_add_u64 v[28:29], v[18:19], 4, v[26:27]
	v_mad_u64_u32 v[18:19], s[8:9], s20, v1, 0
	v_mov_b32_e32 v20, v19
	v_mad_u64_u32 v[20:21], s[8:9], s21, v1, v[20:21]
	v_mov_b32_e32 v19, v20
	v_add_u32_e32 v1, 0xd2, v42
	v_lshl_add_u64 v[30:31], v[18:19], 4, v[26:27]
	global_load_dwordx4 v[18:21], v[28:29], off
	global_load_dwordx4 v[22:25], v[30:31], off
	v_mad_u64_u32 v[28:29], s[8:9], s20, v1, 0
	v_mov_b32_e32 v30, v29
	v_mad_u64_u32 v[30:31], s[8:9], s21, v1, v[30:31]
	v_mov_b32_e32 v29, v30
	v_add_u32_e32 v1, 0xf5, v42
	v_lshl_add_u64 v[38:39], v[28:29], 4, v[26:27]
	v_mad_u64_u32 v[28:29], s[8:9], s20, v1, 0
	v_mov_b32_e32 v30, v29
	v_mad_u64_u32 v[30:31], s[8:9], s21, v1, v[30:31]
	v_mov_b32_e32 v29, v30
	v_lshl_add_u64 v[40:41], v[28:29], 4, v[26:27]
	global_load_dwordx4 v[30:33], v[38:39], off
	global_load_dwordx4 v[26:29], v[40:41], off
.LBB0_18:
	s_or_b64 exec, exec, s[10:11]
	s_waitcnt vmcnt(3)
	v_add_f64 v[38:39], v[6:7], -v[18:19]
	v_add_f64 v[40:41], v[8:9], -v[20:21]
	v_fma_f64 v[18:19], v[6:7], 2.0, -v[38:39]
	v_fma_f64 v[20:21], v[8:9], 2.0, -v[40:41]
	s_waitcnt vmcnt(1)
	v_add_f64 v[6:7], v[14:15], -v[30:31]
	v_add_f64 v[8:9], v[16:17], -v[32:33]
	;; [unrolled: 1-line block ×3, first 2 shown]
	v_fma_f64 v[30:31], v[14:15], 2.0, -v[6:7]
	v_fma_f64 v[32:33], v[16:17], 2.0, -v[8:9]
	v_add_f64 v[46:47], v[4:5], -v[24:25]
	v_fma_f64 v[14:15], v[2:3], 2.0, -v[44:45]
	s_waitcnt vmcnt(0)
	v_add_f64 v[2:3], v[10:11], -v[26:27]
	s_load_dwordx2 s[6:7], s[6:7], 0x0
	v_fma_f64 v[16:17], v[4:5], 2.0, -v[46:47]
	v_add_f64 v[4:5], v[12:13], -v[28:29]
	v_fma_f64 v[24:25], v[10:11], 2.0, -v[2:3]
	v_add_f64 v[10:11], v[18:19], -v[30:31]
	v_add_f64 v[22:23], v[20:21], -v[32:33]
	;; [unrolled: 1-line block ×3, first 2 shown]
	v_add_f64 v[32:33], v[6:7], v[40:41]
	v_fma_f64 v[26:27], v[38:39], 2.0, -v[30:31]
	v_fma_f64 v[28:29], v[40:41], 2.0, -v[32:33]
	v_add_f64 v[40:41], v[44:45], -v[4:5]
	v_add_f64 v[38:39], v[2:3], v[46:47]
	s_mov_b32 s10, 0x667f3bcd
	v_fma_f64 v[48:49], v[12:13], 2.0, -v[4:5]
	v_fma_f64 v[6:7], v[44:45], 2.0, -v[40:41]
	;; [unrolled: 1-line block ×3, first 2 shown]
	s_mov_b32 s11, 0xbfe6a09e
	v_add_f64 v[12:13], v[14:15], -v[24:25]
	v_add_f64 v[24:25], v[16:17], -v[48:49]
	v_fma_f64 v[2:3], s[10:11], v[6:7], v[26:27]
	v_fma_f64 v[4:5], s[10:11], v[8:9], v[28:29]
	s_mov_b32 s17, 0x3fe6a09e
	s_mov_b32 s16, s10
	v_fmac_f64_e32 v[2:3], s[10:11], v[8:9]
	v_fmac_f64_e32 v[4:5], s[16:17], v[6:7]
	v_add_f64 v[6:7], v[10:11], -v[24:25]
	v_add_f64 v[8:9], v[12:13], v[22:23]
	v_lshlrev_b32_e32 v1, 4, v34
	s_and_saveexec_b64 s[8:9], s[2:3]
	s_cbranch_execz .LBB0_20
; %bb.19:
	v_fma_f64 v[44:45], s[16:17], v[40:41], v[30:31]
	v_fma_f64 v[46:47], s[16:17], v[38:39], v[32:33]
	v_fmac_f64_e32 v[44:45], s[10:11], v[38:39]
	v_fma_f64 v[38:39], v[10:11], 2.0, -v[6:7]
	v_fma_f64 v[10:11], v[18:19], 2.0, -v[10:11]
	;; [unrolled: 1-line block ×3, first 2 shown]
	v_add_f64 v[14:15], v[10:11], -v[12:13]
	v_fma_f64 v[20:21], v[20:21], 2.0, -v[22:23]
	v_fma_f64 v[16:17], v[16:17], 2.0, -v[24:25]
	;; [unrolled: 1-line block ×3, first 2 shown]
	v_mul_u32_u24_e32 v10, 56, v42
	v_add_f64 v[16:17], v[20:21], -v[16:17]
	v_lshlrev_b32_e32 v10, 4, v10
	v_fmac_f64_e32 v[46:47], s[16:17], v[40:41]
	v_fma_f64 v[20:21], v[20:21], 2.0, -v[16:17]
	v_add3_u32 v10, 0, v10, v1
	v_fma_f64 v[32:33], v[32:33], 2.0, -v[46:47]
	v_fma_f64 v[30:31], v[30:31], 2.0, -v[44:45]
	;; [unrolled: 1-line block ×5, first 2 shown]
	ds_write_b128 v10, v[18:21]
	ds_write_b128 v10, v[26:29] offset:112
	ds_write_b128 v10, v[38:41] offset:224
	;; [unrolled: 1-line block ×7, first 2 shown]
.LBB0_20:
	s_or_b64 exec, exec, s[8:9]
	v_and_b32_e32 v31, 7, v42
	v_lshlrev_b32_e32 v10, 6, v31
	s_waitcnt lgkmcnt(0)
	s_barrier
	global_load_dwordx4 v[14:17], v10, s[24:25]
	global_load_dwordx4 v[18:21], v10, s[24:25] offset:16
	global_load_dwordx4 v[22:25], v10, s[24:25] offset:32
	;; [unrolled: 1-line block ×3, first 2 shown]
	v_mul_u32_u24_e32 v10, 0x70, v42
	v_add3_u32 v30, 0, v10, v1
	ds_read_b128 v[38:41], v30 offset:6272
	ds_read_b128 v[10:13], v30
	ds_read_b128 v[44:47], v30 offset:12544
	ds_read_b128 v[48:51], v30 offset:18816
	;; [unrolled: 1-line block ×3, first 2 shown]
	s_mov_b32 s8, 0x134454ff
	s_mov_b32 s9, 0x3fee6f0e
	;; [unrolled: 1-line block ×10, first 2 shown]
	s_waitcnt lgkmcnt(0)
	s_barrier
	s_waitcnt vmcnt(3)
	v_mul_f64 v[32:33], v[40:41], v[16:17]
	v_mul_f64 v[56:57], v[38:39], v[16:17]
	s_waitcnt vmcnt(2)
	v_mul_f64 v[16:17], v[46:47], v[20:21]
	v_mul_f64 v[58:59], v[44:45], v[20:21]
	;; [unrolled: 3-line block ×4, first 2 shown]
	v_fma_f64 v[28:29], v[38:39], v[14:15], -v[32:33]
	v_fmac_f64_e32 v[56:57], v[40:41], v[14:15]
	v_fma_f64 v[14:15], v[44:45], v[18:19], -v[16:17]
	v_fma_f64 v[16:17], v[48:49], v[22:23], -v[20:21]
	;; [unrolled: 1-line block ×3, first 2 shown]
	v_fmac_f64_e32 v[58:59], v[46:47], v[18:19]
	v_fmac_f64_e32 v[60:61], v[50:51], v[22:23]
	;; [unrolled: 1-line block ×3, first 2 shown]
	v_add_f64 v[18:19], v[10:11], v[28:29]
	v_add_f64 v[20:21], v[14:15], v[16:17]
	;; [unrolled: 1-line block ×3, first 2 shown]
	v_add_f64 v[32:33], v[56:57], -v[62:63]
	v_add_f64 v[38:39], v[58:59], -v[60:61]
	;; [unrolled: 1-line block ×5, first 2 shown]
	v_add_f64 v[52:53], v[58:59], v[60:61]
	v_add_f64 v[64:65], v[14:15], -v[16:17]
	v_add_f64 v[70:71], v[56:57], v[62:63]
	v_add_f64 v[14:15], v[18:19], v[14:15]
	v_fma_f64 v[26:27], -0.5, v[20:21], v[10:11]
	v_fmac_f64_e32 v[10:11], -0.5, v[44:45]
	v_add_f64 v[50:51], v[12:13], v[56:57]
	v_add_f64 v[54:55], v[28:29], -v[24:25]
	v_add_f64 v[40:41], v[22:23], v[40:41]
	v_fma_f64 v[28:29], -0.5, v[52:53], v[12:13]
	v_fmac_f64_e32 v[12:13], -0.5, v[70:71]
	v_add_f64 v[14:15], v[14:15], v[16:17]
	v_fma_f64 v[18:19], s[8:9], v[32:33], v[26:27]
	v_fmac_f64_e32 v[26:27], s[16:17], v[32:33]
	v_fma_f64 v[22:23], s[16:17], v[38:39], v[10:11]
	v_fmac_f64_e32 v[10:11], s[8:9], v[38:39]
	v_add_f64 v[48:49], v[16:17], -v[24:25]
	v_add_f64 v[14:15], v[14:15], v[24:25]
	v_fmac_f64_e32 v[18:19], s[2:3], v[38:39]
	v_fmac_f64_e32 v[26:27], s[20:21], v[38:39]
	v_fmac_f64_e32 v[22:23], s[2:3], v[32:33]
	v_fmac_f64_e32 v[10:11], s[20:21], v[32:33]
	v_fma_f64 v[24:25], s[8:9], v[64:65], v[12:13]
	v_add_f64 v[32:33], v[58:59], -v[56:57]
	v_add_f64 v[38:39], v[60:61], -v[62:63]
	v_fmac_f64_e32 v[12:13], s[16:17], v[64:65]
	v_fmac_f64_e32 v[24:25], s[20:21], v[54:55]
	v_add_f64 v[32:33], v[32:33], v[38:39]
	v_fmac_f64_e32 v[12:13], s[2:3], v[54:55]
	v_fmac_f64_e32 v[24:25], s[10:11], v[32:33]
	v_fmac_f64_e32 v[12:13], s[10:11], v[32:33]
	v_lshrrev_b32_e32 v32, 3, v42
	v_add_f64 v[20:21], v[50:51], v[58:59]
	v_mul_u32_u24_e32 v32, 40, v32
	v_add_f64 v[66:67], v[56:57], -v[58:59]
	v_add_f64 v[68:69], v[62:63], -v[60:61]
	v_add_f64 v[16:17], v[20:21], v[60:61]
	v_fma_f64 v[20:21], s[16:17], v[54:55], v[28:29]
	v_fmac_f64_e32 v[28:29], s[8:9], v[54:55]
	v_or_b32_e32 v31, v32, v31
	v_add_f64 v[44:45], v[46:47], v[48:49]
	v_add_f64 v[46:47], v[66:67], v[68:69]
	v_fmac_f64_e32 v[20:21], s[20:21], v[64:65]
	v_fmac_f64_e32 v[28:29], s[2:3], v[64:65]
	v_mul_u32_u24_e32 v31, 0x70, v31
	s_movk_i32 s2, 0x118
	v_add_f64 v[16:17], v[16:17], v[62:63]
	v_fmac_f64_e32 v[18:19], s[10:11], v[40:41]
	v_fmac_f64_e32 v[26:27], s[10:11], v[40:41]
	;; [unrolled: 1-line block ×6, first 2 shown]
	v_add3_u32 v1, 0, v31, v1
	v_cmp_gt_u32_e64 s[2:3], s2, v0
	ds_write_b128 v1, v[14:17]
	ds_write_b128 v1, v[18:21] offset:896
	ds_write_b128 v1, v[22:25] offset:1792
	ds_write_b128 v1, v[10:13] offset:2688
	ds_write_b128 v1, v[26:29] offset:3584
	s_waitcnt lgkmcnt(0)
	s_barrier
	s_and_saveexec_b64 s[8:9], s[2:3]
	s_cbranch_execz .LBB0_22
; %bb.21:
	ds_read_b128 v[14:17], v30
	ds_read_b128 v[18:21], v30 offset:4480
	ds_read_b128 v[22:25], v30 offset:8960
	;; [unrolled: 1-line block ×6, first 2 shown]
.LBB0_22:
	s_or_b64 exec, exec, s[8:9]
	s_mov_b32 s8, 0x6666667
	v_mul_hi_u32 v0, v42, s8
	v_mul_u32_u24_e32 v0, 40, v0
	v_sub_u32_e32 v35, v42, v0
	v_mul_u32_u24_e32 v0, 6, v35
	v_lshlrev_b32_e32 v0, 4, v0
	global_load_dwordx4 v[30:33], v0, s[24:25] offset:512
	global_load_dwordx4 v[38:41], v0, s[24:25] offset:528
	;; [unrolled: 1-line block ×6, first 2 shown]
	s_mov_b32 s16, 0x37e14327
	s_mov_b32 s17, 0x3fe948f6
	s_mov_b32 s8, 0x36b3c0b5
	s_mov_b32 s9, 0x3fac98ee
	s_mov_b32 s20, 0xe976ee23
	s_mov_b32 s21, 0xbfe11646
	s_mov_b32 s10, 0x429ad128
	s_mov_b32 s11, 0x3febfeb5
	s_mul_i32 s7, s7, s26
	s_mul_hi_u32 s22, s6, s26
	s_mul_i32 s6, s6, s26
	s_add_i32 s22, s22, s7
	v_mul_lo_u32 v35, v35, v36
	s_add_u32 s6, s6, s48
	s_addc_u32 s7, s22, s33
	v_mul_lo_u32 v43, v36, 40
	s_waitcnt vmcnt(5) lgkmcnt(5)
	v_mul_f64 v[0:1], v[20:21], v[32:33]
	v_mul_f64 v[32:33], v[18:19], v[32:33]
	s_waitcnt vmcnt(4) lgkmcnt(4)
	v_mul_f64 v[60:61], v[24:25], v[40:41]
	v_mul_f64 v[40:41], v[22:23], v[40:41]
	;; [unrolled: 3-line block ×3, first 2 shown]
	v_fma_f64 v[0:1], v[18:19], v[30:31], -v[0:1]
	v_fmac_f64_e32 v[32:33], v[20:21], v[30:31]
	s_waitcnt vmcnt(2) lgkmcnt(2)
	v_mul_f64 v[18:19], v[28:29], v[50:51]
	v_mul_f64 v[20:21], v[26:27], v[50:51]
	s_waitcnt vmcnt(1) lgkmcnt(1)
	v_mul_f64 v[30:31], v[4:5], v[54:55]
	v_mul_f64 v[50:51], v[2:3], v[54:55]
	v_fma_f64 v[22:23], v[22:23], v[38:39], -v[60:61]
	v_fmac_f64_e32 v[40:41], v[24:25], v[38:39]
	s_waitcnt vmcnt(0) lgkmcnt(0)
	v_mul_f64 v[24:25], v[8:9], v[58:59]
	v_mul_f64 v[38:39], v[6:7], v[58:59]
	v_fma_f64 v[10:11], v[10:11], v[44:45], -v[62:63]
	v_fmac_f64_e32 v[46:47], v[12:13], v[44:45]
	v_fma_f64 v[12:13], v[26:27], v[48:49], -v[18:19]
	v_fmac_f64_e32 v[20:21], v[28:29], v[48:49]
	;; [unrolled: 2-line block ×4, first 2 shown]
	v_add_f64 v[6:7], v[0:1], v[4:5]
	v_add_f64 v[8:9], v[32:33], v[38:39]
	;; [unrolled: 1-line block ×6, first 2 shown]
	v_add_f64 v[0:1], v[0:1], -v[4:5]
	v_add_f64 v[4:5], v[32:33], -v[38:39]
	v_add_f64 v[10:11], v[12:13], -v[10:11]
	v_add_f64 v[12:13], v[20:21], -v[46:47]
	v_add_f64 v[20:21], v[18:19], v[6:7]
	v_add_f64 v[30:31], v[24:25], v[8:9]
	v_add_f64 v[32:33], v[18:19], -v[6:7]
	v_add_f64 v[38:39], v[24:25], -v[8:9]
	;; [unrolled: 1-line block ×5, first 2 shown]
	v_add_f64 v[20:21], v[26:27], v[20:21]
	v_add_f64 v[26:27], v[28:29], v[30:31]
	v_mul_f64 v[6:7], v[6:7], s[16:17]
	v_mul_f64 v[8:9], v[8:9], s[16:17]
	s_mov_b32 s16, 0xaaaaaaaa
	v_add_f64 v[2:3], v[22:23], -v[2:3]
	v_add_f64 v[22:23], v[40:41], -v[50:51]
	;; [unrolled: 1-line block ×3, first 2 shown]
	v_add_f64 v[50:51], v[14:15], v[20:21]
	v_add_f64 v[52:53], v[16:17], v[26:27]
	s_mov_b32 s17, 0xbff2aaaa
	v_mul_f64 v[28:29], v[18:19], s[8:9]
	v_mul_f64 v[30:31], v[24:25], s[8:9]
	v_fma_f64 v[14:15], s[16:17], v[20:21], v[50:51]
	v_fma_f64 v[16:17], s[16:17], v[26:27], v[52:53]
	s_mov_b32 s17, 0x3fe77f67
	s_mov_b32 s16, 0x5476071b
	v_add_f64 v[40:41], v[10:11], v[2:3]
	v_add_f64 v[44:45], v[12:13], v[22:23]
	v_add_f64 v[46:47], v[10:11], -v[2:3]
	v_add_f64 v[48:49], v[12:13], -v[22:23]
	v_fma_f64 v[20:21], v[32:33], s[16:17], -v[28:29]
	v_fma_f64 v[26:27], v[38:39], s[16:17], -v[30:31]
	s_mov_b32 s17, 0xbfe77f67
	v_add_f64 v[10:11], v[0:1], -v[10:11]
	v_add_f64 v[12:13], v[4:5], -v[12:13]
	;; [unrolled: 1-line block ×4, first 2 shown]
	v_add_f64 v[0:1], v[40:41], v[0:1]
	v_add_f64 v[4:5], v[44:45], v[4:5]
	v_mul_f64 v[40:41], v[46:47], s[20:21]
	v_mul_f64 v[44:45], v[48:49], s[20:21]
	v_fma_f64 v[18:19], s[8:9], v[18:19], v[6:7]
	v_fma_f64 v[28:29], v[38:39], s[16:17], -v[8:9]
	v_fmac_f64_e32 v[8:9], s[8:9], v[24:25]
	s_mov_b32 s9, 0x3fd5d0dc
	s_mov_b32 s8, 0xb247c609
	v_mul_f64 v[46:47], v[2:3], s[10:11]
	v_mul_f64 v[48:49], v[22:23], s[10:11]
	v_fma_f64 v[30:31], s[8:9], v[10:11], v[40:41]
	v_fma_f64 v[22:23], v[22:23], s[10:11], -v[44:45]
	v_fmac_f64_e32 v[44:45], s[8:9], v[12:13]
	s_mov_b32 s9, 0xbfd5d0dc
	v_fma_f64 v[10:11], v[10:11], s[8:9], -v[46:47]
	v_fma_f64 v[12:13], v[12:13], s[8:9], -v[48:49]
	s_mov_b32 s8, 0x37c3f68c
	v_fma_f64 v[2:3], v[2:3], s[10:11], -v[40:41]
	s_mov_b32 s9, 0x3fdc38aa
	v_fmac_f64_e32 v[30:31], s[8:9], v[0:1]
	v_fmac_f64_e32 v[2:3], s[8:9], v[0:1]
	;; [unrolled: 1-line block ×3, first 2 shown]
	v_lshrrev_b32_e32 v1, 2, v35
	v_fmac_f64_e32 v[44:45], s[8:9], v[4:5]
	v_fmac_f64_e32 v[22:23], s[8:9], v[4:5]
	;; [unrolled: 1-line block ×3, first 2 shown]
	v_and_b32_e32 v0, 63, v35
	s_add_i32 s8, 0, 0x7a80
	v_and_b32_e32 v1, 0x3f0, v1
	v_fma_f64 v[6:7], v[32:33], s[16:17], -v[6:7]
	v_add_f64 v[32:33], v[18:19], v[14:15]
	v_add_f64 v[18:19], v[20:21], v[14:15]
	;; [unrolled: 1-line block ×3, first 2 shown]
	v_lshl_add_u32 v0, v0, 4, 0
	v_add_u32_e32 v4, s8, v1
	v_add_f64 v[8:9], v[8:9], v[16:17]
	v_add_f64 v[24:25], v[6:7], v[14:15]
	;; [unrolled: 1-line block ×4, first 2 shown]
	v_add_f64 v[20:21], v[20:21], -v[2:3]
	ds_read_b128 v[0:3], v0 offset:31360
	ds_read_b128 v[4:7], v4 offset:1024
	v_add_f64 v[40:41], v[8:9], -v[30:31]
	v_add_f64 v[28:29], v[30:31], v[8:9]
	v_add_f64 v[46:47], v[12:13], v[24:25]
	v_add_f64 v[48:49], v[26:27], -v[10:11]
	s_waitcnt lgkmcnt(0)
	v_mul_f64 v[8:9], v[2:3], v[6:7]
	v_add_f64 v[14:15], v[18:19], -v[22:23]
	v_add_f64 v[18:19], v[22:23], v[18:19]
	v_add_f64 v[22:23], v[24:25], -v[12:13]
	v_add_f64 v[24:25], v[10:11], v[26:27]
	v_fma_f64 v[8:9], v[0:1], v[4:5], -v[8:9]
	v_mul_f64 v[10:11], v[0:1], v[6:7]
	v_lshrrev_b32_e32 v0, 8, v35
	v_and_b32_e32 v0, 0x3f0, v0
	v_add_u32_e32 v0, s8, v0
	v_fmac_f64_e32 v[10:11], v[2:3], v[4:5]
	ds_read_b128 v[0:3], v0 offset:2048
	v_add_u32_e32 v35, v35, v43
	v_and_b32_e32 v4, 63, v35
	v_lshl_add_u32 v4, v4, 4, 0
	ds_read_b128 v[4:7], v4 offset:31360
	s_waitcnt lgkmcnt(1)
	v_mul_f64 v[12:13], v[10:11], v[2:3]
	v_fma_f64 v[12:13], v[0:1], v[8:9], -v[12:13]
	v_mul_f64 v[2:3], v[8:9], v[2:3]
	v_lshrrev_b32_e32 v8, 2, v35
	v_fmac_f64_e32 v[2:3], v[0:1], v[10:11]
	v_and_b32_e32 v8, 0x3f0, v8
	v_mul_f64 v[0:1], v[52:53], v[2:3]
	v_mul_f64 v[2:3], v[50:51], v[2:3]
	v_add_u32_e32 v8, s8, v8
	v_fma_f64 v[0:1], v[50:51], v[12:13], -v[0:1]
	v_fmac_f64_e32 v[2:3], v[52:53], v[12:13]
	ds_read_b128 v[8:11], v8 offset:1024
	v_lshrrev_b32_e32 v12, 8, v35
	v_and_b32_e32 v12, 0x3f0, v12
	v_add_u32_e32 v12, s8, v12
	v_add_f64 v[38:39], v[44:45], v[32:33]
	v_add_f64 v[26:27], v[32:33], -v[44:45]
	ds_read_b128 v[30:33], v12 offset:2048
	s_waitcnt lgkmcnt(1)
	v_mul_f64 v[12:13], v[6:7], v[10:11]
	v_fma_f64 v[12:13], v[4:5], v[8:9], -v[12:13]
	v_mul_f64 v[4:5], v[4:5], v[10:11]
	v_fmac_f64_e32 v[4:5], v[6:7], v[8:9]
	s_waitcnt lgkmcnt(0)
	v_mul_f64 v[6:7], v[4:5], v[32:33]
	v_fma_f64 v[36:37], v[30:31], v[12:13], -v[6:7]
	v_mul_f64 v[6:7], v[12:13], v[32:33]
	v_add_u32_e32 v35, v35, v43
	v_fmac_f64_e32 v[6:7], v[30:31], v[4:5]
	v_and_b32_e32 v4, 63, v35
	v_lshrrev_b32_e32 v5, 2, v35
	v_lshl_add_u32 v4, v4, 4, 0
	v_and_b32_e32 v5, 0x3f0, v5
	v_add_u32_e32 v5, s8, v5
	ds_read_b128 v[8:11], v4 offset:31360
	ds_read_b128 v[30:33], v5 offset:1024
	v_mul_f64 v[4:5], v[40:41], v[6:7]
	v_mul_f64 v[6:7], v[38:39], v[6:7]
	v_fma_f64 v[4:5], v[38:39], v[36:37], -v[4:5]
	v_fmac_f64_e32 v[6:7], v[40:41], v[36:37]
	s_waitcnt lgkmcnt(0)
	v_mul_f64 v[12:13], v[10:11], v[32:33]
	v_fma_f64 v[12:13], v[8:9], v[30:31], -v[12:13]
	v_mul_f64 v[36:37], v[8:9], v[32:33]
	v_lshrrev_b32_e32 v8, 8, v35
	v_and_b32_e32 v8, 0x3f0, v8
	v_add_u32_e32 v8, s8, v8
	v_fmac_f64_e32 v[36:37], v[10:11], v[30:31]
	ds_read_b128 v[8:11], v8 offset:2048
	v_add_u32_e32 v35, v35, v43
	v_and_b32_e32 v30, 63, v35
	v_lshl_add_u32 v30, v30, 4, 0
	ds_read_b128 v[30:33], v30 offset:31360
	s_waitcnt lgkmcnt(1)
	v_mul_f64 v[38:39], v[36:37], v[10:11]
	v_fma_f64 v[38:39], v[8:9], v[12:13], -v[38:39]
	v_mul_f64 v[10:11], v[12:13], v[10:11]
	v_lshrrev_b32_e32 v12, 2, v35
	v_fmac_f64_e32 v[10:11], v[8:9], v[36:37]
	v_and_b32_e32 v12, 0x3f0, v12
	v_mul_f64 v[8:9], v[48:49], v[10:11]
	v_mul_f64 v[10:11], v[46:47], v[10:11]
	v_add_u32_e32 v12, s8, v12
	v_fma_f64 v[8:9], v[46:47], v[38:39], -v[8:9]
	v_fmac_f64_e32 v[10:11], v[48:49], v[38:39]
	ds_read_b128 v[36:39], v12 offset:1024
	v_lshrrev_b32_e32 v12, 8, v35
	v_and_b32_e32 v12, 0x3f0, v12
	v_add_u32_e32 v12, s8, v12
	ds_read_b128 v[44:47], v12 offset:2048
	s_waitcnt lgkmcnt(1)
	v_mul_f64 v[12:13], v[32:33], v[38:39]
	v_fma_f64 v[12:13], v[30:31], v[36:37], -v[12:13]
	v_mul_f64 v[30:31], v[30:31], v[38:39]
	v_fmac_f64_e32 v[30:31], v[32:33], v[36:37]
	s_waitcnt lgkmcnt(0)
	v_mul_f64 v[32:33], v[30:31], v[46:47]
	v_add_u32_e32 v35, v35, v43
	v_fma_f64 v[40:41], v[44:45], v[12:13], -v[32:33]
	v_mul_f64 v[46:47], v[12:13], v[46:47]
	v_and_b32_e32 v12, 63, v35
	v_lshrrev_b32_e32 v13, 2, v35
	v_lshl_add_u32 v12, v12, 4, 0
	v_and_b32_e32 v13, 0x3f0, v13
	v_fmac_f64_e32 v[46:47], v[44:45], v[30:31]
	v_add_u32_e32 v13, s8, v13
	ds_read_b128 v[30:33], v12 offset:31360
	ds_read_b128 v[36:39], v13 offset:1024
	v_mul_f64 v[12:13], v[16:17], v[46:47]
	v_fma_f64 v[12:13], v[14:15], v[40:41], -v[12:13]
	v_mul_f64 v[14:15], v[14:15], v[46:47]
	v_fmac_f64_e32 v[14:15], v[16:17], v[40:41]
	s_waitcnt lgkmcnt(0)
	v_mul_f64 v[16:17], v[32:33], v[38:39]
	v_fma_f64 v[16:17], v[30:31], v[36:37], -v[16:17]
	v_mul_f64 v[40:41], v[30:31], v[38:39]
	v_lshrrev_b32_e32 v30, 8, v35
	v_and_b32_e32 v30, 0x3f0, v30
	v_add_u32_e32 v30, s8, v30
	v_fmac_f64_e32 v[40:41], v[32:33], v[36:37]
	ds_read_b128 v[30:33], v30 offset:2048
	v_add_u32_e32 v35, v35, v43
	v_and_b32_e32 v36, 63, v35
	v_lshl_add_u32 v36, v36, 4, 0
	ds_read_b128 v[36:39], v36 offset:31360
	s_waitcnt lgkmcnt(1)
	v_mul_f64 v[44:45], v[40:41], v[32:33]
	v_mul_f64 v[32:33], v[16:17], v[32:33]
	v_fmac_f64_e32 v[32:33], v[30:31], v[40:41]
	v_fma_f64 v[44:45], v[30:31], v[16:17], -v[44:45]
	v_mul_f64 v[16:17], v[20:21], v[32:33]
	v_fma_f64 v[16:17], v[18:19], v[44:45], -v[16:17]
	v_mul_f64 v[18:19], v[18:19], v[32:33]
	v_fmac_f64_e32 v[18:19], v[20:21], v[44:45]
	v_lshrrev_b32_e32 v20, 2, v35
	v_and_b32_e32 v20, 0x3f0, v20
	v_add_u32_e32 v20, s8, v20
	ds_read_b128 v[30:33], v20 offset:1024
	v_lshrrev_b32_e32 v20, 8, v35
	v_and_b32_e32 v20, 0x3f0, v20
	v_add_u32_e32 v20, s8, v20
	ds_read_b128 v[44:47], v20 offset:2048
	s_waitcnt lgkmcnt(1)
	v_mul_f64 v[20:21], v[38:39], v[32:33]
	v_fma_f64 v[20:21], v[36:37], v[30:31], -v[20:21]
	v_mul_f64 v[32:33], v[36:37], v[32:33]
	v_fmac_f64_e32 v[32:33], v[38:39], v[30:31]
	s_waitcnt lgkmcnt(0)
	v_mul_f64 v[36:37], v[20:21], v[46:47]
	v_mul_f64 v[30:31], v[32:33], v[46:47]
	v_fmac_f64_e32 v[36:37], v[44:45], v[32:33]
	v_fma_f64 v[30:31], v[44:45], v[20:21], -v[30:31]
	v_mul_f64 v[20:21], v[24:25], v[36:37]
	v_fma_f64 v[20:21], v[22:23], v[30:31], -v[20:21]
	v_mul_f64 v[22:23], v[22:23], v[36:37]
	v_fmac_f64_e32 v[22:23], v[24:25], v[30:31]
	v_add_u32_e32 v24, v35, v43
	v_and_b32_e32 v25, 63, v24
	v_lshrrev_b32_e32 v30, 2, v24
	v_lshl_add_u32 v25, v25, 4, 0
	v_and_b32_e32 v30, 0x3f0, v30
	v_lshrrev_b32_e32 v24, 8, v24
	v_add_u32_e32 v35, s8, v30
	ds_read_b128 v[30:33], v25 offset:31360
	ds_read_b128 v[36:39], v35 offset:1024
	v_and_b32_e32 v24, 0x3f0, v24
	v_add_u32_e32 v24, s8, v24
	ds_read_b128 v[44:47], v24 offset:2048
	s_and_b64 s[10:11], s[2:3], vcc
	s_waitcnt lgkmcnt(1)
	v_mul_f64 v[24:25], v[32:33], v[38:39]
	v_fma_f64 v[24:25], v[30:31], v[36:37], -v[24:25]
	v_mul_f64 v[30:31], v[30:31], v[38:39]
	v_fmac_f64_e32 v[30:31], v[32:33], v[36:37]
	s_waitcnt lgkmcnt(0)
	v_mul_f64 v[36:37], v[24:25], v[46:47]
	v_mul_f64 v[32:33], v[30:31], v[46:47]
	v_fmac_f64_e32 v[36:37], v[44:45], v[30:31]
	v_fma_f64 v[32:33], v[44:45], v[24:25], -v[32:33]
	v_mul_f64 v[24:25], v[28:29], v[36:37]
	v_fma_f64 v[24:25], v[26:27], v[32:33], -v[24:25]
	v_mul_f64 v[26:27], v[26:27], v[36:37]
	v_fmac_f64_e32 v[26:27], v[28:29], v[32:33]
	v_add_u32_e32 v28, 40, v42
	s_and_saveexec_b64 s[8:9], s[10:11]
	s_cbranch_execz .LBB0_24
; %bb.23:
	v_mad_u64_u32 v[30:31], s[10:11], s14, v34, 0
	v_mov_b32_e32 v32, v31
	v_mad_u64_u32 v[32:33], s[10:11], s15, v34, v[32:33]
	v_mov_b32_e32 v31, v32
	;; [unrolled: 2-line block ×3, first 2 shown]
	v_mad_u64_u32 v[36:37], s[10:11], s13, v42, v[36:37]
	s_lshl_b64 s[10:11], s[6:7], 4
	s_add_u32 s10, s18, s10
	s_addc_u32 s11, s19, s11
	v_mov_b32_e32 v33, v36
	v_lshl_add_u64 v[30:31], v[30:31], 4, s[10:11]
	v_lshl_add_u64 v[32:33], v[32:33], 4, v[30:31]
	global_store_dwordx4 v[32:33], v[0:3], off
	v_mad_u64_u32 v[32:33], s[10:11], s12, v28, 0
	v_mov_b32_e32 v36, v33
	v_mad_u64_u32 v[36:37], s[10:11], s13, v28, v[36:37]
	v_mov_b32_e32 v33, v36
	v_lshl_add_u64 v[32:33], v[32:33], 4, v[30:31]
	v_add_u32_e32 v29, 0x50, v42
	global_store_dwordx4 v[32:33], v[4:7], off
	v_mad_u64_u32 v[32:33], s[10:11], s12, v29, 0
	v_mov_b32_e32 v36, v33
	v_mad_u64_u32 v[36:37], s[10:11], s13, v29, v[36:37]
	v_mov_b32_e32 v33, v36
	v_lshl_add_u64 v[32:33], v[32:33], 4, v[30:31]
	v_add_u32_e32 v29, 0x78, v42
	;; [unrolled: 7-line block ×5, first 2 shown]
	global_store_dwordx4 v[32:33], v[20:23], off
	v_mad_u64_u32 v[32:33], s[10:11], s12, v29, 0
	v_mov_b32_e32 v36, v33
	v_mad_u64_u32 v[36:37], s[10:11], s13, v29, v[36:37]
	v_mov_b32_e32 v33, v36
	v_lshl_add_u64 v[30:31], v[32:33], 4, v[30:31]
	global_store_dwordx4 v[30:31], v[24:27], off
.LBB0_24:
	s_or_b64 exec, exec, s[8:9]
	s_and_b64 s[0:1], s[2:3], s[0:1]
	s_and_b64 s[0:1], s[4:5], s[0:1]
	s_and_saveexec_b64 s[2:3], s[0:1]
	s_cbranch_execz .LBB0_26
; %bb.25:
	v_mad_u64_u32 v[30:31], s[0:1], s14, v34, 0
	v_mov_b32_e32 v32, v31
	v_mad_u64_u32 v[32:33], s[0:1], s15, v34, v[32:33]
	v_mov_b32_e32 v31, v32
	;; [unrolled: 2-line block ×3, first 2 shown]
	v_mad_u64_u32 v[34:35], s[0:1], s13, v42, v[34:35]
	s_lshl_b64 s[0:1], s[6:7], 4
	s_add_u32 s0, s18, s0
	s_addc_u32 s1, s19, s1
	v_mov_b32_e32 v33, v34
	v_lshl_add_u64 v[30:31], v[30:31], 4, s[0:1]
	v_lshl_add_u64 v[32:33], v[32:33], 4, v[30:31]
	global_store_dwordx4 v[32:33], v[0:3], off
	s_nop 1
	v_mad_u64_u32 v[0:1], s[0:1], s12, v28, 0
	v_mov_b32_e32 v2, v1
	v_mad_u64_u32 v[2:3], s[0:1], s13, v28, v[2:3]
	v_mov_b32_e32 v1, v2
	v_lshl_add_u64 v[0:1], v[0:1], 4, v[30:31]
	v_add_u32_e32 v3, 0x50, v42
	global_store_dwordx4 v[0:1], v[4:7], off
	v_mad_u64_u32 v[0:1], s[0:1], s12, v3, 0
	v_mov_b32_e32 v2, v1
	v_mad_u64_u32 v[2:3], s[0:1], s13, v3, v[2:3]
	v_mov_b32_e32 v1, v2
	v_lshl_add_u64 v[0:1], v[0:1], 4, v[30:31]
	v_add_u32_e32 v3, 0x78, v42
	global_store_dwordx4 v[0:1], v[8:11], off
	;; [unrolled: 7-line block ×5, first 2 shown]
	v_mad_u64_u32 v[0:1], s[0:1], s12, v3, 0
	v_mov_b32_e32 v2, v1
	v_mad_u64_u32 v[2:3], s[0:1], s13, v3, v[2:3]
	v_mov_b32_e32 v1, v2
	v_lshl_add_u64 v[0:1], v[0:1], 4, v[30:31]
	global_store_dwordx4 v[0:1], v[24:27], off
.LBB0_26:
	s_endpgm
	.section	.rodata,"a",@progbits
	.p2align	6, 0x0
	.amdhsa_kernel fft_rtc_fwd_len280_factors_8_5_7_wgs_392_tpt_56_dp_op_CI_CI_sbcc_twdbase6_3step_dirReg
		.amdhsa_group_segment_fixed_size 0
		.amdhsa_private_segment_fixed_size 0
		.amdhsa_kernarg_size 112
		.amdhsa_user_sgpr_count 2
		.amdhsa_user_sgpr_dispatch_ptr 0
		.amdhsa_user_sgpr_queue_ptr 0
		.amdhsa_user_sgpr_kernarg_segment_ptr 1
		.amdhsa_user_sgpr_dispatch_id 0
		.amdhsa_user_sgpr_kernarg_preload_length 0
		.amdhsa_user_sgpr_kernarg_preload_offset 0
		.amdhsa_user_sgpr_private_segment_size 0
		.amdhsa_uses_dynamic_stack 0
		.amdhsa_enable_private_segment 0
		.amdhsa_system_sgpr_workgroup_id_x 1
		.amdhsa_system_sgpr_workgroup_id_y 0
		.amdhsa_system_sgpr_workgroup_id_z 0
		.amdhsa_system_sgpr_workgroup_info 0
		.amdhsa_system_vgpr_workitem_id 0
		.amdhsa_next_free_vgpr 72
		.amdhsa_next_free_sgpr 55
		.amdhsa_accum_offset 72
		.amdhsa_reserve_vcc 1
		.amdhsa_float_round_mode_32 0
		.amdhsa_float_round_mode_16_64 0
		.amdhsa_float_denorm_mode_32 3
		.amdhsa_float_denorm_mode_16_64 3
		.amdhsa_dx10_clamp 1
		.amdhsa_ieee_mode 1
		.amdhsa_fp16_overflow 0
		.amdhsa_tg_split 0
		.amdhsa_exception_fp_ieee_invalid_op 0
		.amdhsa_exception_fp_denorm_src 0
		.amdhsa_exception_fp_ieee_div_zero 0
		.amdhsa_exception_fp_ieee_overflow 0
		.amdhsa_exception_fp_ieee_underflow 0
		.amdhsa_exception_fp_ieee_inexact 0
		.amdhsa_exception_int_div_zero 0
	.end_amdhsa_kernel
	.text
.Lfunc_end0:
	.size	fft_rtc_fwd_len280_factors_8_5_7_wgs_392_tpt_56_dp_op_CI_CI_sbcc_twdbase6_3step_dirReg, .Lfunc_end0-fft_rtc_fwd_len280_factors_8_5_7_wgs_392_tpt_56_dp_op_CI_CI_sbcc_twdbase6_3step_dirReg
                                        ; -- End function
	.section	.AMDGPU.csdata,"",@progbits
; Kernel info:
; codeLenInByte = 6984
; NumSgprs: 61
; NumVgprs: 72
; NumAgprs: 0
; TotalNumVgprs: 72
; ScratchSize: 0
; MemoryBound: 1
; FloatMode: 240
; IeeeMode: 1
; LDSByteSize: 0 bytes/workgroup (compile time only)
; SGPRBlocks: 7
; VGPRBlocks: 8
; NumSGPRsForWavesPerEU: 61
; NumVGPRsForWavesPerEU: 72
; AccumOffset: 72
; Occupancy: 7
; WaveLimiterHint : 1
; COMPUTE_PGM_RSRC2:SCRATCH_EN: 0
; COMPUTE_PGM_RSRC2:USER_SGPR: 2
; COMPUTE_PGM_RSRC2:TRAP_HANDLER: 0
; COMPUTE_PGM_RSRC2:TGID_X_EN: 1
; COMPUTE_PGM_RSRC2:TGID_Y_EN: 0
; COMPUTE_PGM_RSRC2:TGID_Z_EN: 0
; COMPUTE_PGM_RSRC2:TIDIG_COMP_CNT: 0
; COMPUTE_PGM_RSRC3_GFX90A:ACCUM_OFFSET: 17
; COMPUTE_PGM_RSRC3_GFX90A:TG_SPLIT: 0
	.text
	.p2alignl 6, 3212836864
	.fill 256, 4, 3212836864
	.type	__hip_cuid_62798c4ade80ac34,@object ; @__hip_cuid_62798c4ade80ac34
	.section	.bss,"aw",@nobits
	.globl	__hip_cuid_62798c4ade80ac34
__hip_cuid_62798c4ade80ac34:
	.byte	0                               ; 0x0
	.size	__hip_cuid_62798c4ade80ac34, 1

	.ident	"AMD clang version 19.0.0git (https://github.com/RadeonOpenCompute/llvm-project roc-6.4.0 25133 c7fe45cf4b819c5991fe208aaa96edf142730f1d)"
	.section	".note.GNU-stack","",@progbits
	.addrsig
	.addrsig_sym __hip_cuid_62798c4ade80ac34
	.amdgpu_metadata
---
amdhsa.kernels:
  - .agpr_count:     0
    .args:
      - .actual_access:  read_only
        .address_space:  global
        .offset:         0
        .size:           8
        .value_kind:     global_buffer
      - .address_space:  global
        .offset:         8
        .size:           8
        .value_kind:     global_buffer
      - .offset:         16
        .size:           8
        .value_kind:     by_value
      - .actual_access:  read_only
        .address_space:  global
        .offset:         24
        .size:           8
        .value_kind:     global_buffer
      - .actual_access:  read_only
        .address_space:  global
        .offset:         32
        .size:           8
        .value_kind:     global_buffer
      - .actual_access:  read_only
        .address_space:  global
        .offset:         40
        .size:           8
        .value_kind:     global_buffer
      - .offset:         48
        .size:           8
        .value_kind:     by_value
      - .actual_access:  read_only
        .address_space:  global
        .offset:         56
        .size:           8
        .value_kind:     global_buffer
      - .actual_access:  read_only
        .address_space:  global
        .offset:         64
        .size:           8
        .value_kind:     global_buffer
      - .offset:         72
        .size:           4
        .value_kind:     by_value
      - .actual_access:  read_only
        .address_space:  global
        .offset:         80
        .size:           8
        .value_kind:     global_buffer
      - .actual_access:  read_only
        .address_space:  global
        .offset:         88
        .size:           8
        .value_kind:     global_buffer
      - .actual_access:  read_only
        .address_space:  global
        .offset:         96
        .size:           8
        .value_kind:     global_buffer
      - .actual_access:  write_only
        .address_space:  global
        .offset:         104
        .size:           8
        .value_kind:     global_buffer
    .group_segment_fixed_size: 0
    .kernarg_segment_align: 8
    .kernarg_segment_size: 112
    .language:       OpenCL C
    .language_version:
      - 2
      - 0
    .max_flat_workgroup_size: 392
    .name:           fft_rtc_fwd_len280_factors_8_5_7_wgs_392_tpt_56_dp_op_CI_CI_sbcc_twdbase6_3step_dirReg
    .private_segment_fixed_size: 0
    .sgpr_count:     61
    .sgpr_spill_count: 0
    .symbol:         fft_rtc_fwd_len280_factors_8_5_7_wgs_392_tpt_56_dp_op_CI_CI_sbcc_twdbase6_3step_dirReg.kd
    .uniform_work_group_size: 1
    .uses_dynamic_stack: false
    .vgpr_count:     72
    .vgpr_spill_count: 0
    .wavefront_size: 64
amdhsa.target:   amdgcn-amd-amdhsa--gfx950
amdhsa.version:
  - 1
  - 2
...

	.end_amdgpu_metadata
